;; amdgpu-corpus repo=ROCm/bitsandbytes kind=harvested arch=n/a opt=n/a
	.text
	.amdgcn_target "amdgcn-amd-amdhsa--gfx1100"
	.amdhsa_code_object_version 6
	.protected	_Z12kgetRowStatsI6__halfLi1024ELi0EEvPT_Pffii ; -- Begin function _Z12kgetRowStatsI6__halfLi1024ELi0EEvPT_Pffii
	.globl	_Z12kgetRowStatsI6__halfLi1024ELi0EEvPT_Pffii
	.p2align	8
	.type	_Z12kgetRowStatsI6__halfLi1024ELi0EEvPT_Pffii,@function
_Z12kgetRowStatsI6__halfLi1024ELi0EEvPT_Pffii: ; @_Z12kgetRowStatsI6__halfLi1024ELi0EEvPT_Pffii
; %bb.0:
	s_load_b32 s7, s[0:1], 0x18
	v_mov_b32_e32 v3, 0x80800000
	s_mov_b32 s8, s15
	s_mov_b32 s3, exec_lo
	s_waitcnt lgkmcnt(0)
	v_cmpx_gt_i32_e64 s7, v0
	s_cbranch_execz .LBB2_4
; %bb.1:
	s_load_b64 s[4:5], s[0:1], 0x0
	s_mul_i32 s10, s8, s7
	v_dual_mov_b32 v4, v0 :: v_dual_lshlrev_b32 v1, 1, v0
	s_ashr_i32 s11, s10, 31
	v_mov_b32_e32 v3, 0x80800000
	s_lshl_b64 s[10:11], s[10:11], 1
	s_waitcnt lgkmcnt(0)
	s_add_u32 s2, s4, s10
	s_addc_u32 s4, s5, s11
	v_add_co_u32 v1, s2, s2, v1
	s_delay_alu instid0(VALU_DEP_1)
	v_add_co_ci_u32_e64 v2, null, s4, 0, s2
	s_mov_b32 s4, 0
	.p2align	6
.LBB2_2:                                ; =>This Inner Loop Header: Depth=1
	global_load_u16 v5, v[1:2], off
	v_dual_max_f32 v3, v3, v3 :: v_dual_add_nc_u32 v4, 0x400, v4
	v_add_co_u32 v1, vcc_lo, 0x800, v1
	v_add_co_ci_u32_e32 v2, vcc_lo, 0, v2, vcc_lo
	s_delay_alu instid0(VALU_DEP_3) | instskip(NEXT) | instid1(VALU_DEP_1)
	v_cmp_le_i32_e64 s2, s7, v4
	s_or_b32 s4, s2, s4
	s_waitcnt vmcnt(0)
	v_cvt_f32_f16_e64 v5, |v5|
	s_delay_alu instid0(VALU_DEP_1)
	v_max_f32_e32 v3, v3, v5
	s_and_not1_b32 exec_lo, exec_lo, s4
	s_cbranch_execnz .LBB2_2
; %bb.3:
	s_or_b32 exec_lo, exec_lo, s4
.LBB2_4:
	s_delay_alu instid0(SALU_CYCLE_1) | instskip(SKIP_2) | instid1(VALU_DEP_2)
	s_or_b32 exec_lo, exec_lo, s3
	v_mbcnt_lo_u32_b32 v1, -1, 0
	v_and_b32_e32 v4, 0x3e0, v0
	v_cmp_ne_u32_e32 vcc_lo, 31, v1
	s_delay_alu instid0(VALU_DEP_2)
	v_sub_nc_u32_e64 v13, s7, v4 clamp
	v_add_nc_u32_e32 v4, 1, v1
	v_cmp_gt_u32_e64 s2, 28, v1
	v_cmp_gt_u32_e64 s3, 24, v1
	v_add_co_ci_u32_e32 v2, vcc_lo, 0, v1, vcc_lo
	v_cmp_gt_u32_e32 vcc_lo, 30, v1
	s_delay_alu instid0(VALU_DEP_4) | instskip(NEXT) | instid1(VALU_DEP_4)
	v_cndmask_b32_e64 v9, 0, 1, s2
	v_cndmask_b32_e64 v11, 0, 1, s3
	s_delay_alu instid0(VALU_DEP_4)
	v_lshlrev_b32_e32 v2, 2, v2
	v_cmp_gt_u32_e64 s4, 16, v1
	v_cndmask_b32_e64 v6, 0, 1, vcc_lo
	v_lshlrev_b32_e32 v9, 2, v9
	v_lshlrev_b32_e32 v11, 3, v11
	ds_bpermute_b32 v5, v2, v3
	v_cndmask_b32_e64 v14, 0, 1, s4
	v_lshlrev_b32_e32 v6, 1, v6
	s_delay_alu instid0(VALU_DEP_2)
	v_lshlrev_b32_e32 v14, 4, v14
	s_waitcnt lgkmcnt(0)
	v_cmp_lt_f32_e32 vcc_lo, v3, v5
	v_cndmask_b32_e32 v7, v3, v5, vcc_lo
	v_cmp_lt_u32_e32 vcc_lo, v4, v13
	v_add_lshl_u32 v5, v6, v1, 2
	v_add_nc_u32_e32 v6, 2, v1
	s_delay_alu instid0(VALU_DEP_4) | instskip(SKIP_3) | instid1(VALU_DEP_1)
	v_cndmask_b32_e32 v8, v3, v7, vcc_lo
	ds_bpermute_b32 v7, v5, v8
	s_waitcnt lgkmcnt(0)
	v_cmp_lt_f32_e64 s2, v8, v7
	v_cndmask_b32_e64 v10, v8, v7, s2
	v_cmp_lt_u32_e64 s2, v6, v13
	v_add_lshl_u32 v7, v9, v1, 2
	s_delay_alu instid0(VALU_DEP_2)
	v_cndmask_b32_e64 v10, v8, v10, s2
	v_add_nc_u32_e32 v8, 4, v1
	s_or_b32 s2, vcc_lo, s2
	ds_bpermute_b32 v9, v7, v10
	s_waitcnt lgkmcnt(0)
	v_cmp_lt_f32_e64 s3, v10, v9
	s_delay_alu instid0(VALU_DEP_1) | instskip(SKIP_2) | instid1(VALU_DEP_2)
	v_cndmask_b32_e64 v12, v10, v9, s3
	v_cmp_lt_u32_e64 s3, v8, v13
	v_add_lshl_u32 v9, v11, v1, 2
	v_cndmask_b32_e64 v12, v10, v12, s3
	v_add_nc_u32_e32 v10, 8, v1
	s_or_b32 s2, s3, s2
	ds_bpermute_b32 v11, v9, v12
	s_waitcnt lgkmcnt(0)
	v_cmp_lt_f32_e64 s4, v12, v11
	s_delay_alu instid0(VALU_DEP_1) | instskip(SKIP_2) | instid1(VALU_DEP_2)
	v_cndmask_b32_e64 v15, v12, v11, s4
	v_cmp_lt_u32_e64 s4, v10, v13
	v_add_lshl_u32 v11, v14, v1, 2
	v_cndmask_b32_e64 v14, v12, v15, s4
	v_add_nc_u32_e32 v12, 16, v1
	s_or_b32 s2, s4, s2
	ds_bpermute_b32 v15, v11, v14
	v_cmp_lt_u32_e64 s5, v12, v13
	s_waitcnt lgkmcnt(0)
	v_cmp_lt_f32_e64 s6, v14, v15
	s_delay_alu instid0(VALU_DEP_1) | instskip(SKIP_3) | instid1(VALU_DEP_1)
	s_and_b32 vcc_lo, s5, s6
	v_cndmask_b32_e32 v13, v14, v15, vcc_lo
	s_or_b32 vcc_lo, s5, s2
	s_mov_b32 s2, exec_lo
	v_cndmask_b32_e32 v3, v3, v13, vcc_lo
	v_cmpx_eq_u32_e32 0, v1
	s_cbranch_execz .LBB2_6
; %bb.5:
	v_lshrrev_b32_e32 v13, 3, v0
	s_delay_alu instid0(VALU_DEP_1)
	v_and_b32_e32 v13, 0x7c, v13
	ds_store_b32 v13, v3
.LBB2_6:
	s_or_b32 exec_lo, exec_lo, s2
	s_delay_alu instid0(SALU_CYCLE_1)
	s_mov_b32 s9, exec_lo
	s_waitcnt lgkmcnt(0)
	s_barrier
	buffer_gl0_inv
	v_cmpx_gt_u32_e32 32, v0
	s_cbranch_execz .LBB2_8
; %bb.7:
	v_lshlrev_b32_e32 v1, 2, v1
	s_add_i32 s7, s7, 31
	s_delay_alu instid0(SALU_CYCLE_1)
	s_lshr_b32 s5, s7, 5
	ds_load_b32 v1, v1
	s_waitcnt lgkmcnt(0)
	ds_bpermute_b32 v2, v2, v1
	s_waitcnt lgkmcnt(0)
	v_cmp_lt_f32_e32 vcc_lo, v1, v2
	v_cndmask_b32_e32 v2, v1, v2, vcc_lo
	v_cmp_gt_u32_e32 vcc_lo, s5, v4
	s_delay_alu instid0(VALU_DEP_2) | instskip(SKIP_3) | instid1(VALU_DEP_1)
	v_cndmask_b32_e32 v2, v1, v2, vcc_lo
	ds_bpermute_b32 v3, v5, v2
	s_waitcnt lgkmcnt(0)
	v_cmp_lt_f32_e64 s2, v2, v3
	v_cndmask_b32_e64 v3, v2, v3, s2
	v_cmp_gt_u32_e64 s2, s5, v6
	s_delay_alu instid0(VALU_DEP_1) | instskip(SKIP_4) | instid1(VALU_DEP_1)
	v_cndmask_b32_e64 v2, v2, v3, s2
	s_or_b32 s2, vcc_lo, s2
	ds_bpermute_b32 v3, v7, v2
	s_waitcnt lgkmcnt(0)
	v_cmp_lt_f32_e64 s3, v2, v3
	v_cndmask_b32_e64 v3, v2, v3, s3
	v_cmp_gt_u32_e64 s3, s5, v8
	s_delay_alu instid0(VALU_DEP_1) | instskip(SKIP_4) | instid1(VALU_DEP_1)
	v_cndmask_b32_e64 v2, v2, v3, s3
	s_or_b32 s2, s3, s2
	ds_bpermute_b32 v3, v9, v2
	s_waitcnt lgkmcnt(0)
	v_cmp_lt_f32_e64 s4, v2, v3
	v_cndmask_b32_e64 v3, v2, v3, s4
	v_cmp_gt_u32_e64 s4, s5, v10
	v_cmp_gt_u32_e64 s5, s5, v12
	s_delay_alu instid0(VALU_DEP_2) | instskip(SKIP_4) | instid1(VALU_DEP_1)
	v_cndmask_b32_e64 v2, v2, v3, s4
	s_or_b32 s2, s4, s2
	ds_bpermute_b32 v3, v11, v2
	s_waitcnt lgkmcnt(0)
	v_cmp_lt_f32_e64 s6, v2, v3
	s_and_b32 vcc_lo, s5, s6
	v_cndmask_b32_e32 v2, v2, v3, vcc_lo
	s_or_b32 vcc_lo, s5, s2
	s_delay_alu instid0(VALU_DEP_1)
	v_cndmask_b32_e32 v3, v1, v2, vcc_lo
.LBB2_8:
	s_or_b32 exec_lo, exec_lo, s9
	s_delay_alu instid0(SALU_CYCLE_1)
	s_mov_b32 s2, exec_lo
	v_cmpx_eq_u32_e32 0, v0
	s_cbranch_execz .LBB2_10
; %bb.9:
	s_load_b64 s[0:1], s[0:1], 0x8
	s_ashr_i32 s9, s8, 31
	v_mov_b32_e32 v0, 0
	s_lshl_b64 s[2:3], s[8:9], 2
	s_waitcnt lgkmcnt(0)
	s_add_u32 s0, s0, s2
	s_addc_u32 s1, s1, s3
	global_store_b32 v0, v3, s[0:1]
.LBB2_10:
	s_nop 0
	s_sendmsg sendmsg(MSG_DEALLOC_VGPRS)
	s_endpgm
	.section	.rodata,"a",@progbits
	.p2align	6, 0x0
	.amdhsa_kernel _Z12kgetRowStatsI6__halfLi1024ELi0EEvPT_Pffii
		.amdhsa_group_segment_fixed_size 128
		.amdhsa_private_segment_fixed_size 0
		.amdhsa_kernarg_size 28
		.amdhsa_user_sgpr_count 15
		.amdhsa_user_sgpr_dispatch_ptr 0
		.amdhsa_user_sgpr_queue_ptr 0
		.amdhsa_user_sgpr_kernarg_segment_ptr 1
		.amdhsa_user_sgpr_dispatch_id 0
		.amdhsa_user_sgpr_private_segment_size 0
		.amdhsa_wavefront_size32 1
		.amdhsa_uses_dynamic_stack 0
		.amdhsa_enable_private_segment 0
		.amdhsa_system_sgpr_workgroup_id_x 1
		.amdhsa_system_sgpr_workgroup_id_y 0
		.amdhsa_system_sgpr_workgroup_id_z 0
		.amdhsa_system_sgpr_workgroup_info 0
		.amdhsa_system_vgpr_workitem_id 0
		.amdhsa_next_free_vgpr 16
		.amdhsa_next_free_sgpr 16
		.amdhsa_reserve_vcc 1
		.amdhsa_float_round_mode_32 0
		.amdhsa_float_round_mode_16_64 0
		.amdhsa_float_denorm_mode_32 3
		.amdhsa_float_denorm_mode_16_64 3
		.amdhsa_dx10_clamp 1
		.amdhsa_ieee_mode 1
		.amdhsa_fp16_overflow 0
		.amdhsa_workgroup_processor_mode 1
		.amdhsa_memory_ordered 1
		.amdhsa_forward_progress 0
		.amdhsa_shared_vgpr_count 0
		.amdhsa_exception_fp_ieee_invalid_op 0
		.amdhsa_exception_fp_denorm_src 0
		.amdhsa_exception_fp_ieee_div_zero 0
		.amdhsa_exception_fp_ieee_overflow 0
		.amdhsa_exception_fp_ieee_underflow 0
		.amdhsa_exception_fp_ieee_inexact 0
		.amdhsa_exception_int_div_zero 0
	.end_amdhsa_kernel
	.section	.text._Z12kgetRowStatsI6__halfLi1024ELi0EEvPT_Pffii,"axG",@progbits,_Z12kgetRowStatsI6__halfLi1024ELi0EEvPT_Pffii,comdat
.Lfunc_end2:
	.size	_Z12kgetRowStatsI6__halfLi1024ELi0EEvPT_Pffii, .Lfunc_end2-_Z12kgetRowStatsI6__halfLi1024ELi0EEvPT_Pffii
                                        ; -- End function
	.section	.AMDGPU.csdata,"",@progbits
; Kernel info:
; codeLenInByte = 1028
; NumSgprs: 18
; NumVgprs: 16
; ScratchSize: 0
; MemoryBound: 0
; FloatMode: 240
; IeeeMode: 1
; LDSByteSize: 128 bytes/workgroup (compile time only)
; SGPRBlocks: 2
; VGPRBlocks: 1
; NumSGPRsForWavesPerEU: 18
; NumVGPRsForWavesPerEU: 16
; Occupancy: 16
; WaveLimiterHint : 0
; COMPUTE_PGM_RSRC2:SCRATCH_EN: 0
; COMPUTE_PGM_RSRC2:USER_SGPR: 15
; COMPUTE_PGM_RSRC2:TRAP_HANDLER: 0
; COMPUTE_PGM_RSRC2:TGID_X_EN: 1
; COMPUTE_PGM_RSRC2:TGID_Y_EN: 0
; COMPUTE_PGM_RSRC2:TGID_Z_EN: 0
; COMPUTE_PGM_RSRC2:TIDIG_COMP_CNT: 0
	.section	.text._Z12kgetRowStatsI6__halfLi1024ELi1EEvPT_Pffii,"axG",@progbits,_Z12kgetRowStatsI6__halfLi1024ELi1EEvPT_Pffii,comdat
